;; amdgpu-corpus repo=ggml-org/llama.cpp kind=compiled arch=gfx1250 opt=O3
	.amdgcn_target "amdgcn-amd-amdhsa--gfx1250"
	.amdhsa_code_object_version 6
	.section	.text._ZL12init_indicesPiii,"axG",@progbits,_ZL12init_indicesPiii,comdat
	.globl	_ZL12init_indicesPiii           ; -- Begin function _ZL12init_indicesPiii
	.p2align	8
	.type	_ZL12init_indicesPiii,@function
_ZL12init_indicesPiii:                  ; @_ZL12init_indicesPiii
; %bb.0:
	s_clause 0x1
	s_load_b32 s4, s[0:1], 0x1c
	s_load_b64 s[2:3], s[0:1], 0x8
	s_bfe_u32 s6, ttmp6, 0x4000c
	s_bfe_u32 s7, ttmp6, 0x40010
	s_add_co_i32 s6, s6, 1
	s_add_co_i32 s7, s7, 1
	s_and_b32 s5, ttmp6, 15
	s_bfe_u32 s8, ttmp6, 0x40004
	s_mul_i32 s6, ttmp9, s6
	s_mul_i32 s7, ttmp7, s7
	s_getreg_b32 s9, hwreg(HW_REG_IB_STS2, 6, 4)
	s_add_co_i32 s5, s5, s6
	s_add_co_i32 s8, s8, s7
	s_wait_kmcnt 0x0
	s_and_b32 s4, s4, 0xffff
	s_cmp_eq_u32 s9, 0
	s_cselect_b32 s5, ttmp9, s5
	s_delay_alu instid0(SALU_CYCLE_1) | instskip(SKIP_1) | instid1(SALU_CYCLE_1)
	v_mad_u32 v0, s5, s4, v0
	s_cselect_b32 s4, ttmp7, s8
	s_cmp_lt_i32 s4, s3
	s_cselect_b32 s3, -1, 0
	s_delay_alu instid0(VALU_DEP_1) | instskip(SKIP_1) | instid1(SALU_CYCLE_1)
	v_cmp_gt_i32_e32 vcc_lo, s2, v0
	s_and_b32 s3, s3, vcc_lo
	s_and_saveexec_b32 s5, s3
	s_cbranch_execz .LBB0_2
; %bb.1:
	s_load_b64 s[0:1], s[0:1], 0x0
	v_mad_u32 v1, s2, s4, v0
	s_wait_kmcnt 0x0
	global_store_b32 v1, v0, s[0:1] scale_offset
.LBB0_2:
	s_endpgm
	.section	.rodata,"a",@progbits
	.p2align	6, 0x0
	.amdhsa_kernel _ZL12init_indicesPiii
		.amdhsa_group_segment_fixed_size 0
		.amdhsa_private_segment_fixed_size 0
		.amdhsa_kernarg_size 272
		.amdhsa_user_sgpr_count 2
		.amdhsa_user_sgpr_dispatch_ptr 0
		.amdhsa_user_sgpr_queue_ptr 0
		.amdhsa_user_sgpr_kernarg_segment_ptr 1
		.amdhsa_user_sgpr_dispatch_id 0
		.amdhsa_user_sgpr_kernarg_preload_length 0
		.amdhsa_user_sgpr_kernarg_preload_offset 0
		.amdhsa_user_sgpr_private_segment_size 0
		.amdhsa_wavefront_size32 1
		.amdhsa_uses_dynamic_stack 0
		.amdhsa_enable_private_segment 0
		.amdhsa_system_sgpr_workgroup_id_x 1
		.amdhsa_system_sgpr_workgroup_id_y 1
		.amdhsa_system_sgpr_workgroup_id_z 0
		.amdhsa_system_sgpr_workgroup_info 0
		.amdhsa_system_vgpr_workitem_id 0
		.amdhsa_next_free_vgpr 2
		.amdhsa_next_free_sgpr 10
		.amdhsa_named_barrier_count 0
		.amdhsa_reserve_vcc 1
		.amdhsa_float_round_mode_32 0
		.amdhsa_float_round_mode_16_64 0
		.amdhsa_float_denorm_mode_32 3
		.amdhsa_float_denorm_mode_16_64 3
		.amdhsa_fp16_overflow 0
		.amdhsa_memory_ordered 1
		.amdhsa_forward_progress 1
		.amdhsa_inst_pref_size 2
		.amdhsa_round_robin_scheduling 0
		.amdhsa_exception_fp_ieee_invalid_op 0
		.amdhsa_exception_fp_denorm_src 0
		.amdhsa_exception_fp_ieee_div_zero 0
		.amdhsa_exception_fp_ieee_overflow 0
		.amdhsa_exception_fp_ieee_underflow 0
		.amdhsa_exception_fp_ieee_inexact 0
		.amdhsa_exception_int_div_zero 0
	.end_amdhsa_kernel
	.section	.text._ZL12init_indicesPiii,"axG",@progbits,_ZL12init_indicesPiii,comdat
.Lfunc_end0:
	.size	_ZL12init_indicesPiii, .Lfunc_end0-_ZL12init_indicesPiii
                                        ; -- End function
	.set _ZL12init_indicesPiii.num_vgpr, 2
	.set _ZL12init_indicesPiii.num_agpr, 0
	.set _ZL12init_indicesPiii.numbered_sgpr, 10
	.set _ZL12init_indicesPiii.num_named_barrier, 0
	.set _ZL12init_indicesPiii.private_seg_size, 0
	.set _ZL12init_indicesPiii.uses_vcc, 1
	.set _ZL12init_indicesPiii.uses_flat_scratch, 0
	.set _ZL12init_indicesPiii.has_dyn_sized_stack, 0
	.set _ZL12init_indicesPiii.has_recursion, 0
	.set _ZL12init_indicesPiii.has_indirect_call, 0
	.section	.AMDGPU.csdata,"",@progbits
; Kernel info:
; codeLenInByte = 176
; TotalNumSgprs: 12
; NumVgprs: 2
; ScratchSize: 0
; MemoryBound: 0
; FloatMode: 240
; IeeeMode: 1
; LDSByteSize: 0 bytes/workgroup (compile time only)
; SGPRBlocks: 0
; VGPRBlocks: 0
; NumSGPRsForWavesPerEU: 12
; NumVGPRsForWavesPerEU: 2
; NamedBarCnt: 0
; Occupancy: 16
; WaveLimiterHint : 0
; COMPUTE_PGM_RSRC2:SCRATCH_EN: 0
; COMPUTE_PGM_RSRC2:USER_SGPR: 2
; COMPUTE_PGM_RSRC2:TRAP_HANDLER: 0
; COMPUTE_PGM_RSRC2:TGID_X_EN: 1
; COMPUTE_PGM_RSRC2:TGID_Y_EN: 1
; COMPUTE_PGM_RSRC2:TGID_Z_EN: 0
; COMPUTE_PGM_RSRC2:TIDIG_COMP_CNT: 0
	.section	.text._ZL12init_offsetsPiii,"axG",@progbits,_ZL12init_offsetsPiii,comdat
	.globl	_ZL12init_offsetsPiii           ; -- Begin function _ZL12init_offsetsPiii
	.p2align	8
	.type	_ZL12init_offsetsPiii,@function
_ZL12init_offsetsPiii:                  ; @_ZL12init_offsetsPiii
; %bb.0:
	s_clause 0x1
	s_load_b32 s4, s[0:1], 0x1c
	s_load_b64 s[2:3], s[0:1], 0x8
	s_bfe_u32 s5, ttmp6, 0x4000c
	s_and_b32 s6, ttmp6, 15
	s_add_co_i32 s5, s5, 1
	s_getreg_b32 s7, hwreg(HW_REG_IB_STS2, 6, 4)
	s_mul_i32 s5, ttmp9, s5
	s_delay_alu instid0(SALU_CYCLE_1) | instskip(SKIP_4) | instid1(SALU_CYCLE_1)
	s_add_co_i32 s6, s6, s5
	s_wait_kmcnt 0x0
	s_and_b32 s4, s4, 0xffff
	s_cmp_eq_u32 s7, 0
	s_cselect_b32 s5, ttmp9, s6
	v_mad_u32 v0, s5, s4, v0
	s_delay_alu instid0(VALU_DEP_1)
	v_cmp_ge_i32_e32 vcc_lo, s3, v0
	s_and_saveexec_b32 s3, vcc_lo
	s_cbranch_execz .LBB1_2
; %bb.1:
	s_load_b64 s[0:1], s[0:1], 0x0
	v_mul_lo_u32 v1, v0, s2
	s_wait_kmcnt 0x0
	global_store_b32 v0, v1, s[0:1] scale_offset
.LBB1_2:
	s_endpgm
	.section	.rodata,"a",@progbits
	.p2align	6, 0x0
	.amdhsa_kernel _ZL12init_offsetsPiii
		.amdhsa_group_segment_fixed_size 0
		.amdhsa_private_segment_fixed_size 0
		.amdhsa_kernarg_size 272
		.amdhsa_user_sgpr_count 2
		.amdhsa_user_sgpr_dispatch_ptr 0
		.amdhsa_user_sgpr_queue_ptr 0
		.amdhsa_user_sgpr_kernarg_segment_ptr 1
		.amdhsa_user_sgpr_dispatch_id 0
		.amdhsa_user_sgpr_kernarg_preload_length 0
		.amdhsa_user_sgpr_kernarg_preload_offset 0
		.amdhsa_user_sgpr_private_segment_size 0
		.amdhsa_wavefront_size32 1
		.amdhsa_uses_dynamic_stack 0
		.amdhsa_enable_private_segment 0
		.amdhsa_system_sgpr_workgroup_id_x 1
		.amdhsa_system_sgpr_workgroup_id_y 0
		.amdhsa_system_sgpr_workgroup_id_z 0
		.amdhsa_system_sgpr_workgroup_info 0
		.amdhsa_system_vgpr_workitem_id 0
		.amdhsa_next_free_vgpr 2
		.amdhsa_next_free_sgpr 8
		.amdhsa_named_barrier_count 0
		.amdhsa_reserve_vcc 1
		.amdhsa_float_round_mode_32 0
		.amdhsa_float_round_mode_16_64 0
		.amdhsa_float_denorm_mode_32 3
		.amdhsa_float_denorm_mode_16_64 3
		.amdhsa_fp16_overflow 0
		.amdhsa_memory_ordered 1
		.amdhsa_forward_progress 1
		.amdhsa_inst_pref_size 2
		.amdhsa_round_robin_scheduling 0
		.amdhsa_exception_fp_ieee_invalid_op 0
		.amdhsa_exception_fp_denorm_src 0
		.amdhsa_exception_fp_ieee_div_zero 0
		.amdhsa_exception_fp_ieee_overflow 0
		.amdhsa_exception_fp_ieee_underflow 0
		.amdhsa_exception_fp_ieee_inexact 0
		.amdhsa_exception_int_div_zero 0
	.end_amdhsa_kernel
	.section	.text._ZL12init_offsetsPiii,"axG",@progbits,_ZL12init_offsetsPiii,comdat
.Lfunc_end1:
	.size	_ZL12init_offsetsPiii, .Lfunc_end1-_ZL12init_offsetsPiii
                                        ; -- End function
	.set _ZL12init_offsetsPiii.num_vgpr, 2
	.set _ZL12init_offsetsPiii.num_agpr, 0
	.set _ZL12init_offsetsPiii.numbered_sgpr, 8
	.set _ZL12init_offsetsPiii.num_named_barrier, 0
	.set _ZL12init_offsetsPiii.private_seg_size, 0
	.set _ZL12init_offsetsPiii.uses_vcc, 1
	.set _ZL12init_offsetsPiii.uses_flat_scratch, 0
	.set _ZL12init_offsetsPiii.has_dyn_sized_stack, 0
	.set _ZL12init_offsetsPiii.has_recursion, 0
	.set _ZL12init_offsetsPiii.has_indirect_call, 0
	.section	.AMDGPU.csdata,"",@progbits
; Kernel info:
; codeLenInByte = 132
; TotalNumSgprs: 10
; NumVgprs: 2
; ScratchSize: 0
; MemoryBound: 0
; FloatMode: 240
; IeeeMode: 1
; LDSByteSize: 0 bytes/workgroup (compile time only)
; SGPRBlocks: 0
; VGPRBlocks: 0
; NumSGPRsForWavesPerEU: 10
; NumVGPRsForWavesPerEU: 2
; NamedBarCnt: 0
; Occupancy: 16
; WaveLimiterHint : 0
; COMPUTE_PGM_RSRC2:SCRATCH_EN: 0
; COMPUTE_PGM_RSRC2:USER_SGPR: 2
; COMPUTE_PGM_RSRC2:TRAP_HANDLER: 0
; COMPUTE_PGM_RSRC2:TGID_X_EN: 1
; COMPUTE_PGM_RSRC2:TGID_Y_EN: 0
; COMPUTE_PGM_RSRC2:TGID_Z_EN: 0
; COMPUTE_PGM_RSRC2:TIDIG_COMP_CNT: 0
	.section	.text._ZL17k_argsort_f32_i32IL15ggml_sort_order0EEvPKfPiii,"axG",@progbits,_ZL17k_argsort_f32_i32IL15ggml_sort_order0EEvPKfPiii,comdat
	.globl	_ZL17k_argsort_f32_i32IL15ggml_sort_order0EEvPKfPiii ; -- Begin function _ZL17k_argsort_f32_i32IL15ggml_sort_order0EEvPKfPiii
	.p2align	8
	.type	_ZL17k_argsort_f32_i32IL15ggml_sort_order0EEvPKfPiii,@function
_ZL17k_argsort_f32_i32IL15ggml_sort_order0EEvPKfPiii: ; @_ZL17k_argsort_f32_i32IL15ggml_sort_order0EEvPKfPiii
; %bb.0:
	s_load_b64 s[4:5], s[0:1], 0x10
	s_mov_b32 s2, exec_lo
	s_wait_kmcnt 0x0
	v_cmpx_gt_i32_e64 s5, v0
	s_cbranch_execz .LBB2_24
; %bb.1:
	s_load_b128 s[0:3], s[0:1], 0x0
	s_bfe_u32 s6, ttmp6, 0x4000c
	s_and_b32 s7, ttmp6, 15
	s_add_co_i32 s6, s6, 1
	s_getreg_b32 s8, hwreg(HW_REG_IB_STS2, 6, 4)
	s_mul_i32 s6, ttmp9, s6
	v_lshl_add_u32 v1, v0, 2, 0
	s_add_co_i32 s7, s7, s6
	s_cmp_eq_u32 s8, 0
	s_mov_b32 s10, 2
	s_cselect_b32 s6, ttmp9, s7
	s_cmp_lt_u32 s5, 2
	s_mul_i32 s6, s4, s6
	ds_store_b32 v1, v0
	s_wait_dscnt 0x0
	s_barrier_signal -1
	s_barrier_wait -1
	s_cbranch_scc1 .LBB2_22
; %bb.2:
	s_ashr_i32 s7, s6, 31
	s_delay_alu instid0(SALU_CYCLE_1)
	s_lshl_b64 s[8:9], s[6:7], 2
	s_wait_kmcnt 0x0
	s_add_nc_u64 s[8:9], s[0:1], s[8:9]
	s_branch .LBB2_4
.LBB2_3:                                ;   in Loop: Header=BB2_4 Depth=1
	s_lshl_b32 s10, s10, 1
	s_delay_alu instid0(SALU_CYCLE_1)
	s_cmp_gt_i32 s10, s5
	s_cbranch_scc1 .LBB2_22
.LBB2_4:                                ; =>This Loop Header: Depth=1
                                        ;     Child Loop BB2_6 Depth 2
	v_and_b32_e32 v2, s10, v0
	s_mov_b32 s1, s10
	s_delay_alu instid0(VALU_DEP_1)
	v_cmp_ne_u32_e32 vcc_lo, 0, v2
	s_branch .LBB2_6
.LBB2_5:                                ;   in Loop: Header=BB2_6 Depth=2
	s_or_b32 exec_lo, exec_lo, s11
	s_cmp_lt_u32 s7, 4
	s_wait_dscnt 0x0
	s_barrier_signal -1
	s_barrier_wait -1
	s_cbranch_scc1 .LBB2_3
.LBB2_6:                                ;   Parent Loop BB2_4 Depth=1
                                        ; =>  This Inner Loop Header: Depth=2
	s_mov_b32 s7, s1
	s_lshr_b32 s1, s1, 1
	s_mov_b32 s11, exec_lo
	v_xor_b32_e32 v2, s1, v0
	s_delay_alu instid0(VALU_DEP_1)
	v_cmpx_gt_u32_e64 v2, v0
	s_cbranch_execz .LBB2_5
; %bb.7:                                ;   in Loop: Header=BB2_6 Depth=2
	v_lshl_add_u32 v2, v2, 2, 0
	s_and_saveexec_b32 s0, vcc_lo
	s_delay_alu instid0(SALU_CYCLE_1)
	s_xor_b32 s12, exec_lo, s0
	s_cbranch_execz .LBB2_15
; %bb.8:                                ;   in Loop: Header=BB2_6 Depth=2
	ds_load_b32 v3, v2
	ds_load_b32 v4, v1
	s_mov_b32 s14, -1
	s_mov_b32 s13, exec_lo
	s_wait_dscnt 0x1
	v_cmpx_gt_i32_e64 s4, v3
	s_cbranch_execz .LBB2_12
; %bb.9:                                ;   in Loop: Header=BB2_6 Depth=2
	s_mov_b32 s15, 0
	s_mov_b32 s14, exec_lo
	s_wait_dscnt 0x0
	v_cmpx_gt_i32_e64 s4, v4
	s_cbranch_execz .LBB2_11
; %bb.10:                               ;   in Loop: Header=BB2_6 Depth=2
	s_clause 0x1
	global_load_b32 v5, v4, s[8:9] scale_offset
	global_load_b32 v6, v3, s[8:9] scale_offset
	s_wait_loadcnt 0x0
	v_cmp_lt_f32_e64 s0, v5, v6
	s_and_b32 s15, s0, exec_lo
.LBB2_11:                               ;   in Loop: Header=BB2_6 Depth=2
	s_or_b32 exec_lo, exec_lo, s14
	s_delay_alu instid0(SALU_CYCLE_1)
	s_or_not1_b32 s14, s15, exec_lo
.LBB2_12:                               ;   in Loop: Header=BB2_6 Depth=2
	s_or_b32 exec_lo, exec_lo, s13
	s_and_saveexec_b32 s0, s14
	s_cbranch_execz .LBB2_14
; %bb.13:                               ;   in Loop: Header=BB2_6 Depth=2
	ds_store_b32 v1, v3
	s_wait_dscnt 0x1
	ds_store_b32 v2, v4
.LBB2_14:                               ;   in Loop: Header=BB2_6 Depth=2
	s_or_b32 exec_lo, exec_lo, s0
                                        ; implicit-def: $vgpr2
.LBB2_15:                               ;   in Loop: Header=BB2_6 Depth=2
	s_and_not1_saveexec_b32 s0, s12
	s_cbranch_execz .LBB2_5
; %bb.16:                               ;   in Loop: Header=BB2_6 Depth=2
	ds_load_b32 v3, v1
	s_wait_dscnt 0x1
	ds_load_b32 v4, v2
	s_mov_b32 s13, -1
	s_mov_b32 s12, exec_lo
	s_wait_dscnt 0x1
	v_cmpx_gt_i32_e64 s4, v3
	s_cbranch_execz .LBB2_20
; %bb.17:                               ;   in Loop: Header=BB2_6 Depth=2
	s_mov_b32 s14, 0
	s_mov_b32 s13, exec_lo
	s_wait_dscnt 0x0
	v_cmpx_gt_i32_e64 s4, v4
	s_cbranch_execz .LBB2_19
; %bb.18:                               ;   in Loop: Header=BB2_6 Depth=2
	s_clause 0x1
	global_load_b32 v5, v3, s[8:9] scale_offset
	global_load_b32 v6, v4, s[8:9] scale_offset
	s_wait_loadcnt 0x0
	v_cmp_gt_f32_e64 s0, v5, v6
	s_and_b32 s14, s0, exec_lo
.LBB2_19:                               ;   in Loop: Header=BB2_6 Depth=2
	s_or_b32 exec_lo, exec_lo, s13
	s_delay_alu instid0(SALU_CYCLE_1)
	s_or_not1_b32 s13, s14, exec_lo
.LBB2_20:                               ;   in Loop: Header=BB2_6 Depth=2
	s_or_b32 exec_lo, exec_lo, s12
	s_delay_alu instid0(SALU_CYCLE_1)
	s_and_b32 exec_lo, exec_lo, s13
	s_cbranch_execz .LBB2_5
; %bb.21:                               ;   in Loop: Header=BB2_6 Depth=2
	s_wait_dscnt 0x0
	ds_store_b32 v1, v4
	ds_store_b32 v2, v3
	s_branch .LBB2_5
.LBB2_22:
	v_cmp_gt_i32_e32 vcc_lo, s4, v0
	s_and_b32 exec_lo, exec_lo, vcc_lo
	s_cbranch_execz .LBB2_24
; %bb.23:
	ds_load_b32 v1, v1
	v_add_nc_u32_e32 v0, s6, v0
	s_wait_dscnt 0x0
	s_wait_kmcnt 0x0
	global_store_b32 v0, v1, s[2:3] scale_offset
.LBB2_24:
	s_endpgm
	.section	.rodata,"a",@progbits
	.p2align	6, 0x0
	.amdhsa_kernel _ZL17k_argsort_f32_i32IL15ggml_sort_order0EEvPKfPiii
		.amdhsa_group_segment_fixed_size 0
		.amdhsa_private_segment_fixed_size 0
		.amdhsa_kernarg_size 24
		.amdhsa_user_sgpr_count 2
		.amdhsa_user_sgpr_dispatch_ptr 0
		.amdhsa_user_sgpr_queue_ptr 0
		.amdhsa_user_sgpr_kernarg_segment_ptr 1
		.amdhsa_user_sgpr_dispatch_id 0
		.amdhsa_user_sgpr_kernarg_preload_length 0
		.amdhsa_user_sgpr_kernarg_preload_offset 0
		.amdhsa_user_sgpr_private_segment_size 0
		.amdhsa_wavefront_size32 1
		.amdhsa_uses_dynamic_stack 0
		.amdhsa_enable_private_segment 0
		.amdhsa_system_sgpr_workgroup_id_x 1
		.amdhsa_system_sgpr_workgroup_id_y 0
		.amdhsa_system_sgpr_workgroup_id_z 0
		.amdhsa_system_sgpr_workgroup_info 0
		.amdhsa_system_vgpr_workitem_id 0
		.amdhsa_next_free_vgpr 7
		.amdhsa_next_free_sgpr 16
		.amdhsa_named_barrier_count 0
		.amdhsa_reserve_vcc 1
		.amdhsa_float_round_mode_32 0
		.amdhsa_float_round_mode_16_64 0
		.amdhsa_float_denorm_mode_32 3
		.amdhsa_float_denorm_mode_16_64 3
		.amdhsa_fp16_overflow 0
		.amdhsa_memory_ordered 1
		.amdhsa_forward_progress 1
		.amdhsa_inst_pref_size 5
		.amdhsa_round_robin_scheduling 0
		.amdhsa_exception_fp_ieee_invalid_op 0
		.amdhsa_exception_fp_denorm_src 0
		.amdhsa_exception_fp_ieee_div_zero 0
		.amdhsa_exception_fp_ieee_overflow 0
		.amdhsa_exception_fp_ieee_underflow 0
		.amdhsa_exception_fp_ieee_inexact 0
		.amdhsa_exception_int_div_zero 0
	.end_amdhsa_kernel
	.section	.text._ZL17k_argsort_f32_i32IL15ggml_sort_order0EEvPKfPiii,"axG",@progbits,_ZL17k_argsort_f32_i32IL15ggml_sort_order0EEvPKfPiii,comdat
.Lfunc_end2:
	.size	_ZL17k_argsort_f32_i32IL15ggml_sort_order0EEvPKfPiii, .Lfunc_end2-_ZL17k_argsort_f32_i32IL15ggml_sort_order0EEvPKfPiii
                                        ; -- End function
	.set _ZL17k_argsort_f32_i32IL15ggml_sort_order0EEvPKfPiii.num_vgpr, 7
	.set _ZL17k_argsort_f32_i32IL15ggml_sort_order0EEvPKfPiii.num_agpr, 0
	.set _ZL17k_argsort_f32_i32IL15ggml_sort_order0EEvPKfPiii.numbered_sgpr, 16
	.set _ZL17k_argsort_f32_i32IL15ggml_sort_order0EEvPKfPiii.num_named_barrier, 0
	.set _ZL17k_argsort_f32_i32IL15ggml_sort_order0EEvPKfPiii.private_seg_size, 0
	.set _ZL17k_argsort_f32_i32IL15ggml_sort_order0EEvPKfPiii.uses_vcc, 1
	.set _ZL17k_argsort_f32_i32IL15ggml_sort_order0EEvPKfPiii.uses_flat_scratch, 0
	.set _ZL17k_argsort_f32_i32IL15ggml_sort_order0EEvPKfPiii.has_dyn_sized_stack, 0
	.set _ZL17k_argsort_f32_i32IL15ggml_sort_order0EEvPKfPiii.has_recursion, 0
	.set _ZL17k_argsort_f32_i32IL15ggml_sort_order0EEvPKfPiii.has_indirect_call, 0
	.section	.AMDGPU.csdata,"",@progbits
; Kernel info:
; codeLenInByte = 632
; TotalNumSgprs: 18
; NumVgprs: 7
; ScratchSize: 0
; MemoryBound: 0
; FloatMode: 240
; IeeeMode: 1
; LDSByteSize: 0 bytes/workgroup (compile time only)
; SGPRBlocks: 0
; VGPRBlocks: 0
; NumSGPRsForWavesPerEU: 18
; NumVGPRsForWavesPerEU: 7
; NamedBarCnt: 0
; Occupancy: 16
; WaveLimiterHint : 0
; COMPUTE_PGM_RSRC2:SCRATCH_EN: 0
; COMPUTE_PGM_RSRC2:USER_SGPR: 2
; COMPUTE_PGM_RSRC2:TRAP_HANDLER: 0
; COMPUTE_PGM_RSRC2:TGID_X_EN: 1
; COMPUTE_PGM_RSRC2:TGID_Y_EN: 0
; COMPUTE_PGM_RSRC2:TGID_Z_EN: 0
; COMPUTE_PGM_RSRC2:TIDIG_COMP_CNT: 0
	.section	.text._ZL17k_argsort_f32_i32IL15ggml_sort_order1EEvPKfPiii,"axG",@progbits,_ZL17k_argsort_f32_i32IL15ggml_sort_order1EEvPKfPiii,comdat
	.globl	_ZL17k_argsort_f32_i32IL15ggml_sort_order1EEvPKfPiii ; -- Begin function _ZL17k_argsort_f32_i32IL15ggml_sort_order1EEvPKfPiii
	.p2align	8
	.type	_ZL17k_argsort_f32_i32IL15ggml_sort_order1EEvPKfPiii,@function
_ZL17k_argsort_f32_i32IL15ggml_sort_order1EEvPKfPiii: ; @_ZL17k_argsort_f32_i32IL15ggml_sort_order1EEvPKfPiii
; %bb.0:
	s_load_b64 s[4:5], s[0:1], 0x10
	s_mov_b32 s2, exec_lo
	s_wait_kmcnt 0x0
	v_cmpx_gt_i32_e64 s5, v0
	s_cbranch_execz .LBB3_24
; %bb.1:
	s_load_b128 s[0:3], s[0:1], 0x0
	s_bfe_u32 s6, ttmp6, 0x4000c
	s_and_b32 s7, ttmp6, 15
	s_add_co_i32 s6, s6, 1
	s_getreg_b32 s8, hwreg(HW_REG_IB_STS2, 6, 4)
	s_mul_i32 s6, ttmp9, s6
	v_lshl_add_u32 v1, v0, 2, 0
	s_add_co_i32 s7, s7, s6
	s_cmp_eq_u32 s8, 0
	s_mov_b32 s10, 2
	s_cselect_b32 s6, ttmp9, s7
	s_cmp_lt_u32 s5, 2
	s_mul_i32 s6, s4, s6
	ds_store_b32 v1, v0
	s_wait_dscnt 0x0
	s_barrier_signal -1
	s_barrier_wait -1
	s_cbranch_scc1 .LBB3_22
; %bb.2:
	s_ashr_i32 s7, s6, 31
	s_delay_alu instid0(SALU_CYCLE_1)
	s_lshl_b64 s[8:9], s[6:7], 2
	s_wait_kmcnt 0x0
	s_add_nc_u64 s[8:9], s[0:1], s[8:9]
	s_branch .LBB3_4
.LBB3_3:                                ;   in Loop: Header=BB3_4 Depth=1
	s_lshl_b32 s10, s10, 1
	s_delay_alu instid0(SALU_CYCLE_1)
	s_cmp_gt_i32 s10, s5
	s_cbranch_scc1 .LBB3_22
.LBB3_4:                                ; =>This Loop Header: Depth=1
                                        ;     Child Loop BB3_6 Depth 2
	v_and_b32_e32 v2, s10, v0
	s_mov_b32 s1, s10
	s_delay_alu instid0(VALU_DEP_1)
	v_cmp_ne_u32_e32 vcc_lo, 0, v2
	s_branch .LBB3_6
.LBB3_5:                                ;   in Loop: Header=BB3_6 Depth=2
	s_or_b32 exec_lo, exec_lo, s11
	s_cmp_lt_u32 s7, 4
	s_wait_dscnt 0x0
	s_barrier_signal -1
	s_barrier_wait -1
	s_cbranch_scc1 .LBB3_3
.LBB3_6:                                ;   Parent Loop BB3_4 Depth=1
                                        ; =>  This Inner Loop Header: Depth=2
	s_mov_b32 s7, s1
	s_lshr_b32 s1, s1, 1
	s_mov_b32 s11, exec_lo
	v_xor_b32_e32 v2, s1, v0
	s_delay_alu instid0(VALU_DEP_1)
	v_cmpx_gt_u32_e64 v2, v0
	s_cbranch_execz .LBB3_5
; %bb.7:                                ;   in Loop: Header=BB3_6 Depth=2
	v_lshl_add_u32 v2, v2, 2, 0
	s_and_saveexec_b32 s0, vcc_lo
	s_delay_alu instid0(SALU_CYCLE_1)
	s_xor_b32 s12, exec_lo, s0
	s_cbranch_execz .LBB3_15
; %bb.8:                                ;   in Loop: Header=BB3_6 Depth=2
	ds_load_b32 v3, v2
	ds_load_b32 v4, v1
	s_mov_b32 s14, -1
	s_mov_b32 s13, exec_lo
	s_wait_dscnt 0x1
	v_cmpx_gt_i32_e64 s4, v3
	s_cbranch_execz .LBB3_12
; %bb.9:                                ;   in Loop: Header=BB3_6 Depth=2
	s_mov_b32 s15, 0
	s_mov_b32 s14, exec_lo
	s_wait_dscnt 0x0
	v_cmpx_gt_i32_e64 s4, v4
	s_cbranch_execz .LBB3_11
; %bb.10:                               ;   in Loop: Header=BB3_6 Depth=2
	s_clause 0x1
	global_load_b32 v5, v4, s[8:9] scale_offset
	global_load_b32 v6, v3, s[8:9] scale_offset
	s_wait_loadcnt 0x0
	v_cmp_gt_f32_e64 s0, v5, v6
	s_and_b32 s15, s0, exec_lo
.LBB3_11:                               ;   in Loop: Header=BB3_6 Depth=2
	s_or_b32 exec_lo, exec_lo, s14
	s_delay_alu instid0(SALU_CYCLE_1)
	s_or_not1_b32 s14, s15, exec_lo
.LBB3_12:                               ;   in Loop: Header=BB3_6 Depth=2
	s_or_b32 exec_lo, exec_lo, s13
	s_and_saveexec_b32 s0, s14
	s_cbranch_execz .LBB3_14
; %bb.13:                               ;   in Loop: Header=BB3_6 Depth=2
	ds_store_b32 v1, v3
	s_wait_dscnt 0x1
	ds_store_b32 v2, v4
.LBB3_14:                               ;   in Loop: Header=BB3_6 Depth=2
	s_or_b32 exec_lo, exec_lo, s0
                                        ; implicit-def: $vgpr2
.LBB3_15:                               ;   in Loop: Header=BB3_6 Depth=2
	s_and_not1_saveexec_b32 s0, s12
	s_cbranch_execz .LBB3_5
; %bb.16:                               ;   in Loop: Header=BB3_6 Depth=2
	ds_load_b32 v3, v1
	s_wait_dscnt 0x1
	ds_load_b32 v4, v2
	s_mov_b32 s13, -1
	s_mov_b32 s12, exec_lo
	s_wait_dscnt 0x1
	v_cmpx_gt_i32_e64 s4, v3
	s_cbranch_execz .LBB3_20
; %bb.17:                               ;   in Loop: Header=BB3_6 Depth=2
	s_mov_b32 s14, 0
	s_mov_b32 s13, exec_lo
	s_wait_dscnt 0x0
	v_cmpx_gt_i32_e64 s4, v4
	s_cbranch_execz .LBB3_19
; %bb.18:                               ;   in Loop: Header=BB3_6 Depth=2
	s_clause 0x1
	global_load_b32 v5, v3, s[8:9] scale_offset
	global_load_b32 v6, v4, s[8:9] scale_offset
	s_wait_loadcnt 0x0
	v_cmp_lt_f32_e64 s0, v5, v6
	s_and_b32 s14, s0, exec_lo
.LBB3_19:                               ;   in Loop: Header=BB3_6 Depth=2
	s_or_b32 exec_lo, exec_lo, s13
	s_delay_alu instid0(SALU_CYCLE_1)
	s_or_not1_b32 s13, s14, exec_lo
.LBB3_20:                               ;   in Loop: Header=BB3_6 Depth=2
	s_or_b32 exec_lo, exec_lo, s12
	s_delay_alu instid0(SALU_CYCLE_1)
	s_and_b32 exec_lo, exec_lo, s13
	s_cbranch_execz .LBB3_5
; %bb.21:                               ;   in Loop: Header=BB3_6 Depth=2
	s_wait_dscnt 0x0
	ds_store_b32 v1, v4
	ds_store_b32 v2, v3
	s_branch .LBB3_5
.LBB3_22:
	v_cmp_gt_i32_e32 vcc_lo, s4, v0
	s_and_b32 exec_lo, exec_lo, vcc_lo
	s_cbranch_execz .LBB3_24
; %bb.23:
	ds_load_b32 v1, v1
	v_add_nc_u32_e32 v0, s6, v0
	s_wait_dscnt 0x0
	s_wait_kmcnt 0x0
	global_store_b32 v0, v1, s[2:3] scale_offset
.LBB3_24:
	s_endpgm
	.section	.rodata,"a",@progbits
	.p2align	6, 0x0
	.amdhsa_kernel _ZL17k_argsort_f32_i32IL15ggml_sort_order1EEvPKfPiii
		.amdhsa_group_segment_fixed_size 0
		.amdhsa_private_segment_fixed_size 0
		.amdhsa_kernarg_size 24
		.amdhsa_user_sgpr_count 2
		.amdhsa_user_sgpr_dispatch_ptr 0
		.amdhsa_user_sgpr_queue_ptr 0
		.amdhsa_user_sgpr_kernarg_segment_ptr 1
		.amdhsa_user_sgpr_dispatch_id 0
		.amdhsa_user_sgpr_kernarg_preload_length 0
		.amdhsa_user_sgpr_kernarg_preload_offset 0
		.amdhsa_user_sgpr_private_segment_size 0
		.amdhsa_wavefront_size32 1
		.amdhsa_uses_dynamic_stack 0
		.amdhsa_enable_private_segment 0
		.amdhsa_system_sgpr_workgroup_id_x 1
		.amdhsa_system_sgpr_workgroup_id_y 0
		.amdhsa_system_sgpr_workgroup_id_z 0
		.amdhsa_system_sgpr_workgroup_info 0
		.amdhsa_system_vgpr_workitem_id 0
		.amdhsa_next_free_vgpr 7
		.amdhsa_next_free_sgpr 16
		.amdhsa_named_barrier_count 0
		.amdhsa_reserve_vcc 1
		.amdhsa_float_round_mode_32 0
		.amdhsa_float_round_mode_16_64 0
		.amdhsa_float_denorm_mode_32 3
		.amdhsa_float_denorm_mode_16_64 3
		.amdhsa_fp16_overflow 0
		.amdhsa_memory_ordered 1
		.amdhsa_forward_progress 1
		.amdhsa_inst_pref_size 5
		.amdhsa_round_robin_scheduling 0
		.amdhsa_exception_fp_ieee_invalid_op 0
		.amdhsa_exception_fp_denorm_src 0
		.amdhsa_exception_fp_ieee_div_zero 0
		.amdhsa_exception_fp_ieee_overflow 0
		.amdhsa_exception_fp_ieee_underflow 0
		.amdhsa_exception_fp_ieee_inexact 0
		.amdhsa_exception_int_div_zero 0
	.end_amdhsa_kernel
	.section	.text._ZL17k_argsort_f32_i32IL15ggml_sort_order1EEvPKfPiii,"axG",@progbits,_ZL17k_argsort_f32_i32IL15ggml_sort_order1EEvPKfPiii,comdat
.Lfunc_end3:
	.size	_ZL17k_argsort_f32_i32IL15ggml_sort_order1EEvPKfPiii, .Lfunc_end3-_ZL17k_argsort_f32_i32IL15ggml_sort_order1EEvPKfPiii
                                        ; -- End function
	.set _ZL17k_argsort_f32_i32IL15ggml_sort_order1EEvPKfPiii.num_vgpr, 7
	.set _ZL17k_argsort_f32_i32IL15ggml_sort_order1EEvPKfPiii.num_agpr, 0
	.set _ZL17k_argsort_f32_i32IL15ggml_sort_order1EEvPKfPiii.numbered_sgpr, 16
	.set _ZL17k_argsort_f32_i32IL15ggml_sort_order1EEvPKfPiii.num_named_barrier, 0
	.set _ZL17k_argsort_f32_i32IL15ggml_sort_order1EEvPKfPiii.private_seg_size, 0
	.set _ZL17k_argsort_f32_i32IL15ggml_sort_order1EEvPKfPiii.uses_vcc, 1
	.set _ZL17k_argsort_f32_i32IL15ggml_sort_order1EEvPKfPiii.uses_flat_scratch, 0
	.set _ZL17k_argsort_f32_i32IL15ggml_sort_order1EEvPKfPiii.has_dyn_sized_stack, 0
	.set _ZL17k_argsort_f32_i32IL15ggml_sort_order1EEvPKfPiii.has_recursion, 0
	.set _ZL17k_argsort_f32_i32IL15ggml_sort_order1EEvPKfPiii.has_indirect_call, 0
	.section	.AMDGPU.csdata,"",@progbits
; Kernel info:
; codeLenInByte = 632
; TotalNumSgprs: 18
; NumVgprs: 7
; ScratchSize: 0
; MemoryBound: 0
; FloatMode: 240
; IeeeMode: 1
; LDSByteSize: 0 bytes/workgroup (compile time only)
; SGPRBlocks: 0
; VGPRBlocks: 0
; NumSGPRsForWavesPerEU: 18
; NumVGPRsForWavesPerEU: 7
; NamedBarCnt: 0
; Occupancy: 16
; WaveLimiterHint : 0
; COMPUTE_PGM_RSRC2:SCRATCH_EN: 0
; COMPUTE_PGM_RSRC2:USER_SGPR: 2
; COMPUTE_PGM_RSRC2:TRAP_HANDLER: 0
; COMPUTE_PGM_RSRC2:TGID_X_EN: 1
; COMPUTE_PGM_RSRC2:TGID_Y_EN: 0
; COMPUTE_PGM_RSRC2:TGID_Z_EN: 0
; COMPUTE_PGM_RSRC2:TIDIG_COMP_CNT: 0
	.section	.AMDGPU.gpr_maximums,"",@progbits
	.set amdgpu.max_num_vgpr, 0
	.set amdgpu.max_num_agpr, 0
	.set amdgpu.max_num_sgpr, 0
	.section	.AMDGPU.csdata,"",@progbits
	.type	__hip_cuid_be7724208bd9242a,@object ; @__hip_cuid_be7724208bd9242a
	.section	.bss,"aw",@nobits
	.globl	__hip_cuid_be7724208bd9242a
__hip_cuid_be7724208bd9242a:
	.byte	0                               ; 0x0
	.size	__hip_cuid_be7724208bd9242a, 1

	.ident	"AMD clang version 22.0.0git (https://github.com/RadeonOpenCompute/llvm-project roc-7.2.4 26084 f58b06dce1f9c15707c5f808fd002e18c2accf7e)"
	.section	".note.GNU-stack","",@progbits
	.addrsig
	.addrsig_sym __hip_cuid_be7724208bd9242a
	.amdgpu_metadata
---
amdhsa.kernels:
  - .args:
      - .address_space:  global
        .offset:         0
        .size:           8
        .value_kind:     global_buffer
      - .offset:         8
        .size:           4
        .value_kind:     by_value
      - .offset:         12
        .size:           4
        .value_kind:     by_value
      - .offset:         16
        .size:           4
        .value_kind:     hidden_block_count_x
      - .offset:         20
        .size:           4
        .value_kind:     hidden_block_count_y
      - .offset:         24
        .size:           4
        .value_kind:     hidden_block_count_z
      - .offset:         28
        .size:           2
        .value_kind:     hidden_group_size_x
      - .offset:         30
        .size:           2
        .value_kind:     hidden_group_size_y
      - .offset:         32
        .size:           2
        .value_kind:     hidden_group_size_z
      - .offset:         34
        .size:           2
        .value_kind:     hidden_remainder_x
      - .offset:         36
        .size:           2
        .value_kind:     hidden_remainder_y
      - .offset:         38
        .size:           2
        .value_kind:     hidden_remainder_z
      - .offset:         56
        .size:           8
        .value_kind:     hidden_global_offset_x
      - .offset:         64
        .size:           8
        .value_kind:     hidden_global_offset_y
      - .offset:         72
        .size:           8
        .value_kind:     hidden_global_offset_z
      - .offset:         80
        .size:           2
        .value_kind:     hidden_grid_dims
    .group_segment_fixed_size: 0
    .kernarg_segment_align: 8
    .kernarg_segment_size: 272
    .language:       OpenCL C
    .language_version:
      - 2
      - 0
    .max_flat_workgroup_size: 1024
    .name:           _ZL12init_indicesPiii
    .private_segment_fixed_size: 0
    .sgpr_count:     12
    .sgpr_spill_count: 0
    .symbol:         _ZL12init_indicesPiii.kd
    .uniform_work_group_size: 1
    .uses_dynamic_stack: false
    .vgpr_count:     2
    .vgpr_spill_count: 0
    .wavefront_size: 32
  - .args:
      - .address_space:  global
        .offset:         0
        .size:           8
        .value_kind:     global_buffer
      - .offset:         8
        .size:           4
        .value_kind:     by_value
      - .offset:         12
        .size:           4
        .value_kind:     by_value
      - .offset:         16
        .size:           4
        .value_kind:     hidden_block_count_x
      - .offset:         20
        .size:           4
        .value_kind:     hidden_block_count_y
      - .offset:         24
        .size:           4
        .value_kind:     hidden_block_count_z
      - .offset:         28
        .size:           2
        .value_kind:     hidden_group_size_x
      - .offset:         30
        .size:           2
        .value_kind:     hidden_group_size_y
      - .offset:         32
        .size:           2
        .value_kind:     hidden_group_size_z
      - .offset:         34
        .size:           2
        .value_kind:     hidden_remainder_x
      - .offset:         36
        .size:           2
        .value_kind:     hidden_remainder_y
      - .offset:         38
        .size:           2
        .value_kind:     hidden_remainder_z
      - .offset:         56
        .size:           8
        .value_kind:     hidden_global_offset_x
      - .offset:         64
        .size:           8
        .value_kind:     hidden_global_offset_y
      - .offset:         72
        .size:           8
        .value_kind:     hidden_global_offset_z
      - .offset:         80
        .size:           2
        .value_kind:     hidden_grid_dims
    .group_segment_fixed_size: 0
    .kernarg_segment_align: 8
    .kernarg_segment_size: 272
    .language:       OpenCL C
    .language_version:
      - 2
      - 0
    .max_flat_workgroup_size: 1024
    .name:           _ZL12init_offsetsPiii
    .private_segment_fixed_size: 0
    .sgpr_count:     10
    .sgpr_spill_count: 0
    .symbol:         _ZL12init_offsetsPiii.kd
    .uniform_work_group_size: 1
    .uses_dynamic_stack: false
    .vgpr_count:     2
    .vgpr_spill_count: 0
    .wavefront_size: 32
  - .args:
      - .address_space:  global
        .offset:         0
        .size:           8
        .value_kind:     global_buffer
      - .address_space:  global
        .offset:         8
        .size:           8
        .value_kind:     global_buffer
      - .offset:         16
        .size:           4
        .value_kind:     by_value
      - .offset:         20
        .size:           4
        .value_kind:     by_value
    .group_segment_fixed_size: 0
    .kernarg_segment_align: 8
    .kernarg_segment_size: 24
    .language:       OpenCL C
    .language_version:
      - 2
      - 0
    .max_flat_workgroup_size: 1024
    .name:           _ZL17k_argsort_f32_i32IL15ggml_sort_order0EEvPKfPiii
    .private_segment_fixed_size: 0
    .sgpr_count:     18
    .sgpr_spill_count: 0
    .symbol:         _ZL17k_argsort_f32_i32IL15ggml_sort_order0EEvPKfPiii.kd
    .uniform_work_group_size: 1
    .uses_dynamic_stack: false
    .vgpr_count:     7
    .vgpr_spill_count: 0
    .wavefront_size: 32
  - .args:
      - .address_space:  global
        .offset:         0
        .size:           8
        .value_kind:     global_buffer
      - .address_space:  global
        .offset:         8
        .size:           8
        .value_kind:     global_buffer
      - .offset:         16
        .size:           4
        .value_kind:     by_value
      - .offset:         20
        .size:           4
        .value_kind:     by_value
    .group_segment_fixed_size: 0
    .kernarg_segment_align: 8
    .kernarg_segment_size: 24
    .language:       OpenCL C
    .language_version:
      - 2
      - 0
    .max_flat_workgroup_size: 1024
    .name:           _ZL17k_argsort_f32_i32IL15ggml_sort_order1EEvPKfPiii
    .private_segment_fixed_size: 0
    .sgpr_count:     18
    .sgpr_spill_count: 0
    .symbol:         _ZL17k_argsort_f32_i32IL15ggml_sort_order1EEvPKfPiii.kd
    .uniform_work_group_size: 1
    .uses_dynamic_stack: false
    .vgpr_count:     7
    .vgpr_spill_count: 0
    .wavefront_size: 32
amdhsa.target:   amdgcn-amd-amdhsa--gfx1250
amdhsa.version:
  - 1
  - 2
...

	.end_amdgpu_metadata
